;; amdgpu-corpus repo=ROCm/rocFFT kind=compiled arch=gfx950 opt=O3
	.text
	.amdgcn_target "amdgcn-amd-amdhsa--gfx950"
	.amdhsa_code_object_version 6
	.protected	fft_rtc_fwd_len154_factors_11_7_2_wgs_110_tpt_22_sp_op_CI_CI_sbrr_dirReg ; -- Begin function fft_rtc_fwd_len154_factors_11_7_2_wgs_110_tpt_22_sp_op_CI_CI_sbrr_dirReg
	.globl	fft_rtc_fwd_len154_factors_11_7_2_wgs_110_tpt_22_sp_op_CI_CI_sbrr_dirReg
	.p2align	8
	.type	fft_rtc_fwd_len154_factors_11_7_2_wgs_110_tpt_22_sp_op_CI_CI_sbrr_dirReg,@function
fft_rtc_fwd_len154_factors_11_7_2_wgs_110_tpt_22_sp_op_CI_CI_sbrr_dirReg: ; @fft_rtc_fwd_len154_factors_11_7_2_wgs_110_tpt_22_sp_op_CI_CI_sbrr_dirReg
; %bb.0:
	s_load_dwordx4 s[12:15], s[0:1], 0x18
	s_load_dwordx4 s[8:11], s[0:1], 0x0
	;; [unrolled: 1-line block ×3, first 2 shown]
	v_mul_u32_u24_e32 v1, 0xba3, v0
	v_lshrrev_b32_e32 v2, 16, v1
	s_waitcnt lgkmcnt(0)
	s_load_dwordx2 s[18:19], s[12:13], 0x0
	s_load_dwordx2 s[16:17], s[14:15], 0x0
	v_mad_u64_u32 v[4:5], s[2:3], s2, 5, v[2:3]
	v_mov_b32_e32 v6, 0
	v_mov_b32_e32 v5, v6
	v_cmp_lt_u64_e64 s[2:3], s[10:11], 2
	v_mov_b64_e32 v[2:3], 0
	s_and_b64 vcc, exec, s[2:3]
	v_mov_b64_e32 v[24:25], v[2:3]
	v_mov_b64_e32 v[26:27], v[4:5]
	s_cbranch_vccnz .LBB0_8
; %bb.1:
	s_load_dwordx2 s[2:3], s[0:1], 0x10
	s_add_u32 s20, s14, 8
	s_addc_u32 s21, s15, 0
	s_add_u32 s22, s12, 8
	s_addc_u32 s23, s13, 0
	s_waitcnt lgkmcnt(0)
	s_add_u32 s24, s2, 8
	v_mov_b64_e32 v[2:3], 0
	s_addc_u32 s25, s3, 0
	s_mov_b64 s[26:27], 1
	v_mov_b64_e32 v[24:25], v[2:3]
	v_mov_b64_e32 v[8:9], v[4:5]
.LBB0_2:                                ; =>This Inner Loop Header: Depth=1
	s_load_dwordx2 s[28:29], s[24:25], 0x0
                                        ; implicit-def: $vgpr26_vgpr27
	s_waitcnt lgkmcnt(0)
	v_or_b32_e32 v7, s29, v9
	v_cmp_ne_u64_e32 vcc, 0, v[6:7]
	s_and_saveexec_b64 s[2:3], vcc
	s_xor_b64 s[30:31], exec, s[2:3]
	s_cbranch_execz .LBB0_4
; %bb.3:                                ;   in Loop: Header=BB0_2 Depth=1
	v_cvt_f32_u32_e32 v1, s28
	v_cvt_f32_u32_e32 v5, s29
	s_sub_u32 s2, 0, s28
	s_subb_u32 s3, 0, s29
	v_fmac_f32_e32 v1, 0x4f800000, v5
	v_rcp_f32_e32 v1, v1
	s_nop 0
	v_mul_f32_e32 v1, 0x5f7ffffc, v1
	v_mul_f32_e32 v5, 0x2f800000, v1
	v_trunc_f32_e32 v5, v5
	v_fmac_f32_e32 v1, 0xcf800000, v5
	v_cvt_u32_f32_e32 v5, v5
	v_cvt_u32_f32_e32 v1, v1
	v_mul_lo_u32 v7, s2, v5
	v_mul_hi_u32 v10, s2, v1
	v_mul_lo_u32 v11, s3, v1
	v_add_u32_e32 v7, v10, v7
	v_mul_lo_u32 v14, s2, v1
	v_add_u32_e32 v7, v7, v11
	v_mul_hi_u32 v10, v1, v14
	v_mul_hi_u32 v13, v1, v7
	v_mul_lo_u32 v12, v1, v7
	v_mov_b32_e32 v11, v6
	v_lshl_add_u64 v[10:11], v[10:11], 0, v[12:13]
	v_mul_hi_u32 v13, v5, v14
	v_mul_lo_u32 v14, v5, v14
	v_add_co_u32_e32 v10, vcc, v10, v14
	v_mul_hi_u32 v12, v5, v7
	s_nop 0
	v_addc_co_u32_e32 v10, vcc, v11, v13, vcc
	v_mov_b32_e32 v11, v6
	s_nop 0
	v_addc_co_u32_e32 v13, vcc, 0, v12, vcc
	v_mul_lo_u32 v12, v5, v7
	v_lshl_add_u64 v[10:11], v[10:11], 0, v[12:13]
	v_add_co_u32_e32 v1, vcc, v1, v10
	v_mul_hi_u32 v10, s2, v1
	s_nop 0
	v_addc_co_u32_e32 v5, vcc, v5, v11, vcc
	v_mul_lo_u32 v7, s2, v5
	v_add_u32_e32 v7, v10, v7
	v_mul_lo_u32 v10, s3, v1
	v_add_u32_e32 v7, v7, v10
	v_mul_lo_u32 v12, s2, v1
	v_mul_hi_u32 v15, v5, v12
	v_mul_lo_u32 v16, v5, v12
	v_mul_hi_u32 v11, v1, v7
	v_mul_lo_u32 v10, v1, v7
	v_mul_hi_u32 v12, v1, v12
	v_mov_b32_e32 v13, v6
	v_lshl_add_u64 v[10:11], v[12:13], 0, v[10:11]
	v_add_co_u32_e32 v10, vcc, v10, v16
	v_mul_hi_u32 v14, v5, v7
	s_nop 0
	v_addc_co_u32_e32 v10, vcc, v11, v15, vcc
	v_mul_lo_u32 v12, v5, v7
	s_nop 0
	v_addc_co_u32_e32 v13, vcc, 0, v14, vcc
	v_mov_b32_e32 v11, v6
	v_lshl_add_u64 v[10:11], v[10:11], 0, v[12:13]
	v_add_co_u32_e32 v1, vcc, v1, v10
	v_mul_hi_u32 v12, v8, v1
	s_nop 0
	v_addc_co_u32_e32 v5, vcc, v5, v11, vcc
	v_mad_u64_u32 v[10:11], s[2:3], v8, v5, 0
	v_mov_b32_e32 v13, v6
	v_lshl_add_u64 v[10:11], v[12:13], 0, v[10:11]
	v_mad_u64_u32 v[14:15], s[2:3], v9, v1, 0
	v_add_co_u32_e32 v1, vcc, v10, v14
	v_mad_u64_u32 v[12:13], s[2:3], v9, v5, 0
	s_nop 0
	v_addc_co_u32_e32 v10, vcc, v11, v15, vcc
	v_mov_b32_e32 v11, v6
	s_nop 0
	v_addc_co_u32_e32 v13, vcc, 0, v13, vcc
	v_lshl_add_u64 v[10:11], v[10:11], 0, v[12:13]
	v_mul_lo_u32 v1, s29, v10
	v_mul_lo_u32 v5, s28, v11
	v_mad_u64_u32 v[12:13], s[2:3], s28, v10, 0
	v_add3_u32 v1, v13, v5, v1
	v_sub_u32_e32 v5, v9, v1
	v_mov_b32_e32 v7, s29
	v_sub_co_u32_e32 v16, vcc, v8, v12
	v_lshl_add_u64 v[14:15], v[10:11], 0, 1
	s_nop 0
	v_subb_co_u32_e64 v5, s[2:3], v5, v7, vcc
	v_subrev_co_u32_e64 v7, s[2:3], s28, v16
	v_subb_co_u32_e32 v1, vcc, v9, v1, vcc
	s_nop 0
	v_subbrev_co_u32_e64 v5, s[2:3], 0, v5, s[2:3]
	v_cmp_le_u32_e64 s[2:3], s29, v5
	v_cmp_le_u32_e32 vcc, s29, v1
	s_nop 0
	v_cndmask_b32_e64 v12, 0, -1, s[2:3]
	v_cmp_le_u32_e64 s[2:3], s28, v7
	s_nop 1
	v_cndmask_b32_e64 v7, 0, -1, s[2:3]
	v_cmp_eq_u32_e64 s[2:3], s29, v5
	s_nop 1
	v_cndmask_b32_e64 v5, v12, v7, s[2:3]
	v_lshl_add_u64 v[12:13], v[10:11], 0, 2
	v_cmp_ne_u32_e64 s[2:3], 0, v5
	v_cndmask_b32_e64 v7, 0, -1, vcc
	v_cmp_le_u32_e32 vcc, s28, v16
	v_cndmask_b32_e64 v5, v15, v13, s[2:3]
	s_nop 0
	v_cndmask_b32_e64 v13, 0, -1, vcc
	v_cmp_eq_u32_e32 vcc, s29, v1
	s_nop 1
	v_cndmask_b32_e32 v1, v7, v13, vcc
	v_cmp_ne_u32_e32 vcc, 0, v1
	v_cndmask_b32_e64 v1, v14, v12, s[2:3]
	s_nop 0
	v_cndmask_b32_e32 v27, v11, v5, vcc
	v_cndmask_b32_e32 v26, v10, v1, vcc
.LBB0_4:                                ;   in Loop: Header=BB0_2 Depth=1
	s_andn2_saveexec_b64 s[2:3], s[30:31]
	s_cbranch_execz .LBB0_6
; %bb.5:                                ;   in Loop: Header=BB0_2 Depth=1
	v_cvt_f32_u32_e32 v1, s28
	s_sub_i32 s30, 0, s28
	v_mov_b32_e32 v27, v6
	v_rcp_iflag_f32_e32 v1, v1
	s_nop 0
	v_mul_f32_e32 v1, 0x4f7ffffe, v1
	v_cvt_u32_f32_e32 v1, v1
	v_mul_lo_u32 v5, s30, v1
	v_mul_hi_u32 v5, v1, v5
	v_add_u32_e32 v1, v1, v5
	v_mul_hi_u32 v1, v8, v1
	v_mul_lo_u32 v5, v1, s28
	v_sub_u32_e32 v5, v8, v5
	v_add_u32_e32 v7, 1, v1
	v_subrev_u32_e32 v10, s28, v5
	v_cmp_le_u32_e32 vcc, s28, v5
	s_nop 1
	v_cndmask_b32_e32 v5, v5, v10, vcc
	v_cndmask_b32_e32 v1, v1, v7, vcc
	v_add_u32_e32 v7, 1, v1
	v_cmp_le_u32_e32 vcc, s28, v5
	s_nop 1
	v_cndmask_b32_e32 v26, v1, v7, vcc
.LBB0_6:                                ;   in Loop: Header=BB0_2 Depth=1
	s_or_b64 exec, exec, s[2:3]
	v_mad_u64_u32 v[10:11], s[2:3], v26, s28, 0
	s_load_dwordx2 s[2:3], s[22:23], 0x0
	s_add_u32 s26, s26, 1
	v_mul_lo_u32 v1, v27, s28
	v_mul_lo_u32 v5, v26, s29
	s_load_dwordx2 s[28:29], s[20:21], 0x0
	s_addc_u32 s27, s27, 0
	v_add3_u32 v1, v11, v5, v1
	v_sub_co_u32_e32 v5, vcc, v8, v10
	s_add_u32 s20, s20, 8
	s_nop 0
	v_subb_co_u32_e32 v1, vcc, v9, v1, vcc
	s_addc_u32 s21, s21, 0
	s_waitcnt lgkmcnt(0)
	v_mul_lo_u32 v7, s2, v1
	v_mul_lo_u32 v8, s3, v5
	v_mad_u64_u32 v[2:3], s[2:3], s2, v5, v[2:3]
	s_add_u32 s22, s22, 8
	v_add3_u32 v3, v8, v3, v7
	s_addc_u32 s23, s23, 0
	v_mov_b64_e32 v[8:9], s[10:11]
	v_mul_lo_u32 v1, s28, v1
	v_mul_lo_u32 v7, s29, v5
	v_mad_u64_u32 v[24:25], s[2:3], s28, v5, v[24:25]
	s_add_u32 s24, s24, 8
	v_cmp_ge_u64_e32 vcc, s[26:27], v[8:9]
	v_add3_u32 v25, v7, v25, v1
	s_addc_u32 s25, s25, 0
	s_cbranch_vccnz .LBB0_8
; %bb.7:                                ;   in Loop: Header=BB0_2 Depth=1
	v_mov_b64_e32 v[8:9], v[26:27]
	s_branch .LBB0_2
.LBB0_8:
	s_load_dwordx2 s[0:1], s[0:1], 0x28
	s_lshl_b64 s[10:11], s[10:11], 3
	s_add_u32 s2, s14, s10
	s_mov_b32 s14, 0xcccccccd
	v_mul_hi_u32 v1, v4, s14
	v_lshrrev_b32_e32 v1, 2, v1
	v_lshl_add_u32 v1, v1, 2, v1
	s_addc_u32 s3, s15, s11
	v_sub_u32_e32 v1, v4, v1
	s_waitcnt lgkmcnt(0)
	v_cmp_gt_u64_e32 vcc, s[0:1], v[26:27]
	v_cmp_le_u64_e64 s[0:1], s[0:1], v[26:27]
                                        ; implicit-def: $vgpr28
	s_and_saveexec_b64 s[14:15], s[0:1]
	s_xor_b64 s[0:1], exec, s[14:15]
; %bb.9:
	s_mov_b32 s14, 0xba2e8bb
	v_mul_hi_u32 v2, v0, s14
	v_mul_u32_u24_e32 v2, 22, v2
	v_sub_u32_e32 v28, v0, v2
                                        ; implicit-def: $vgpr0
                                        ; implicit-def: $vgpr2_vgpr3
; %bb.10:
	s_or_saveexec_b64 s[0:1], s[0:1]
	v_mul_u32_u24_e32 v70, 0x9a, v1
	v_lshlrev_b32_e32 v29, 3, v70
	s_xor_b64 exec, exec, s[0:1]
	s_cbranch_execz .LBB0_12
; %bb.11:
	s_add_u32 s10, s12, s10
	s_addc_u32 s11, s13, s11
	s_load_dwordx2 s[10:11], s[10:11], 0x0
	s_mov_b32 s12, 0xba2e8bb
	s_waitcnt lgkmcnt(0)
	v_mul_lo_u32 v1, s11, v26
	v_mul_lo_u32 v6, s10, v27
	v_mad_u64_u32 v[4:5], s[10:11], s10, v26, 0
	v_add3_u32 v5, v5, v6, v1
	v_mul_hi_u32 v1, v0, s12
	v_mul_u32_u24_e32 v1, 22, v1
	v_sub_u32_e32 v28, v0, v1
	v_mad_u64_u32 v[0:1], s[10:11], s18, v28, 0
	v_mov_b32_e32 v6, v1
	v_mad_u64_u32 v[6:7], s[10:11], s19, v28, v[6:7]
	v_lshl_add_u64 v[4:5], v[4:5], 3, s[4:5]
	v_add_u32_e32 v7, 22, v28
	v_lshl_add_u64 v[2:3], v[2:3], 3, v[4:5]
	v_mad_u64_u32 v[4:5], s[4:5], s18, v7, 0
	v_mov_b32_e32 v1, v6
	v_mov_b32_e32 v6, v5
	v_mad_u64_u32 v[6:7], s[4:5], s19, v7, v[6:7]
	v_add_u32_e32 v9, 44, v28
	v_mov_b32_e32 v5, v6
	v_mad_u64_u32 v[6:7], s[4:5], s18, v9, 0
	v_mov_b32_e32 v8, v7
	v_mad_u64_u32 v[8:9], s[4:5], s19, v9, v[8:9]
	v_add_u32_e32 v11, 0x42, v28
	v_mov_b32_e32 v7, v8
	v_mad_u64_u32 v[8:9], s[4:5], s18, v11, 0
	v_mov_b32_e32 v10, v9
	v_mad_u64_u32 v[10:11], s[4:5], s19, v11, v[10:11]
	v_lshl_add_u64 v[0:1], v[0:1], 3, v[2:3]
	v_lshl_add_u64 v[4:5], v[4:5], 3, v[2:3]
	v_mov_b32_e32 v9, v10
	v_lshl_add_u64 v[6:7], v[6:7], 3, v[2:3]
	v_lshl_add_u64 v[8:9], v[8:9], 3, v[2:3]
	global_load_dwordx2 v[10:11], v[0:1], off
	global_load_dwordx2 v[12:13], v[4:5], off
	;; [unrolled: 1-line block ×4, first 2 shown]
	v_add_u32_e32 v5, 0x58, v28
	v_mad_u64_u32 v[0:1], s[4:5], s18, v5, 0
	v_mov_b32_e32 v4, v1
	v_mad_u64_u32 v[4:5], s[4:5], s19, v5, v[4:5]
	v_add_u32_e32 v7, 0x6e, v28
	v_mov_b32_e32 v1, v4
	v_mad_u64_u32 v[4:5], s[4:5], s18, v7, 0
	v_mov_b32_e32 v6, v5
	v_mad_u64_u32 v[6:7], s[4:5], s19, v7, v[6:7]
	v_add_u32_e32 v9, 0x84, v28
	v_mov_b32_e32 v5, v6
	v_mad_u64_u32 v[6:7], s[4:5], s18, v9, 0
	v_mov_b32_e32 v8, v7
	v_mad_u64_u32 v[8:9], s[4:5], s19, v9, v[8:9]
	v_lshl_add_u64 v[0:1], v[0:1], 3, v[2:3]
	v_mov_b32_e32 v7, v8
	v_lshl_add_u64 v[4:5], v[4:5], 3, v[2:3]
	v_lshl_add_u64 v[2:3], v[6:7], 3, v[2:3]
	global_load_dwordx2 v[6:7], v[0:1], off
	global_load_dwordx2 v[8:9], v[4:5], off
	;; [unrolled: 1-line block ×3, first 2 shown]
	v_lshlrev_b32_e32 v0, 3, v28
	v_add3_u32 v0, 0, v29, v0
	s_waitcnt vmcnt(5)
	ds_write2_b64 v0, v[10:11], v[12:13] offset1:22
	s_waitcnt vmcnt(3)
	ds_write2_b64 v0, v[14:15], v[16:17] offset0:44 offset1:66
	s_waitcnt vmcnt(1)
	ds_write2_b64 v0, v[6:7], v[8:9] offset0:88 offset1:110
	s_waitcnt vmcnt(0)
	ds_write_b64 v0, v[18:19] offset:1056
.LBB0_12:
	s_or_b64 exec, exec, s[0:1]
	v_lshlrev_b32_e32 v0, 3, v28
	v_add_u32_e32 v73, 0, v0
	v_add_u32_e32 v72, v73, v29
	s_waitcnt lgkmcnt(0)
	s_barrier
	ds_read2_b64 v[8:11], v72 offset0:14 offset1:28
	ds_read2_b64 v[4:7], v72 offset0:126 offset1:140
	v_add_u32_e32 v71, 0, v29
	v_add_u32_e32 v74, v71, v0
	ds_read_b64 v[0:1], v74
	ds_read2_b64 v[16:19], v72 offset0:42 offset1:56
	ds_read2_b64 v[12:15], v72 offset0:98 offset1:112
	s_mov_b32 s14, 0xbf4178ce
	s_waitcnt lgkmcnt(3)
	v_pk_add_f32 v[34:35], v[8:9], v[6:7] neg_lo:[0,1] neg_hi:[0,1]
	v_pk_add_f32 v[30:31], v[6:7], v[8:9]
	s_mov_b32 s12, 0xbf27a4f4
	v_pk_mul_f32 v[2:3], v[34:35], s[14:15] op_sel_hi:[1,0]
	v_pk_add_f32 v[38:39], v[10:11], v[4:5] neg_lo:[0,1] neg_hi:[0,1]
	s_mov_b32 s30, 0x3f7d64f0
	v_pk_fma_f32 v[48:49], v[30:31], s[12:13], v[2:3] op_sel:[0,0,1] op_sel_hi:[1,0,0]
	v_pk_fma_f32 v[46:47], v[30:31], s[12:13], v[2:3] op_sel:[0,0,1] op_sel_hi:[1,0,0] neg_lo:[0,0,1] neg_hi:[0,0,1]
	v_pk_add_f32 v[32:33], v[4:5], v[10:11]
	s_mov_b32 s10, 0xbe11bafb
	v_pk_mul_f32 v[20:21], v[38:39], s[30:31] op_sel_hi:[1,0]
	v_mov_b32_e32 v2, v48
	v_mov_b32_e32 v3, v47
	v_pk_fma_f32 v[56:57], v[32:33], s[10:11], v[20:21] op_sel:[0,0,1] op_sel_hi:[1,0,0]
	v_pk_fma_f32 v[54:55], v[32:33], s[10:11], v[20:21] op_sel:[0,0,1] op_sel_hi:[1,0,0] neg_lo:[0,0,1] neg_hi:[0,0,1]
	s_waitcnt lgkmcnt(2)
	v_pk_add_f32 v[2:3], v[0:1], v[2:3]
	v_mov_b32_e32 v20, v56
	v_mov_b32_e32 v21, v55
	s_waitcnt lgkmcnt(0)
	v_pk_add_f32 v[40:41], v[16:17], v[14:15] neg_lo:[0,1] neg_hi:[0,1]
	s_mov_b32 s28, 0xbf0a6770
	v_pk_add_f32 v[2:3], v[20:21], v[2:3]
	v_pk_add_f32 v[36:37], v[14:15], v[16:17]
	s_mov_b32 s18, 0x3f575c64
	v_pk_mul_f32 v[20:21], v[40:41], s[28:29] op_sel_hi:[1,0]
	v_pk_add_f32 v[44:45], v[18:19], v[12:13] neg_lo:[0,1] neg_hi:[0,1]
	v_pk_fma_f32 v[58:59], v[36:37], s[18:19], v[20:21] op_sel:[0,0,1] op_sel_hi:[1,0,0]
	v_pk_fma_f32 v[60:61], v[36:37], s[18:19], v[20:21] op_sel:[0,0,1] op_sel_hi:[1,0,0] neg_lo:[0,0,1] neg_hi:[0,0,1]
	v_mov_b32_e32 v20, v58
	v_mov_b32_e32 v21, v61
	s_mov_b32 s26, 0xbe903f40
	v_pk_add_f32 v[2:3], v[20:21], v[2:3]
	v_pk_add_f32 v[42:43], v[12:13], v[18:19]
	s_mov_b32 s22, 0xbf75a155
	v_pk_mul_f32 v[20:21], v[44:45], s[26:27] op_sel_hi:[1,0]
	s_mov_b32 s24, 0x3f68dda4
	v_pk_fma_f32 v[62:63], v[42:43], s[22:23], v[20:21] op_sel:[0,0,1] op_sel_hi:[1,0,0]
	v_pk_fma_f32 v[64:65], v[42:43], s[22:23], v[20:21] op_sel:[0,0,1] op_sel_hi:[1,0,0] neg_lo:[0,0,1] neg_hi:[0,0,1]
	ds_read2_b64 v[20:23], v72 offset0:70 offset1:84
	v_mov_b32_e32 v50, v62
	v_mov_b32_e32 v51, v65
	v_pk_add_f32 v[2:3], v[50:51], v[2:3]
	s_mov_b32 s20, 0x3ed4b147
	s_waitcnt lgkmcnt(0)
	v_pk_add_f32 v[52:53], v[20:21], v[22:23] neg_lo:[0,1] neg_hi:[0,1]
	v_pk_add_f32 v[50:51], v[22:23], v[20:21]
	v_pk_mul_f32 v[68:69], v[52:53], s[24:25] op_sel_hi:[1,0]
	v_cmp_gt_u32_e64 s[0:1], 14, v28
	v_pk_fma_f32 v[66:67], v[50:51], s[20:21], v[68:69] op_sel:[0,0,1] op_sel_hi:[1,0,0]
	v_pk_fma_f32 v[68:69], v[50:51], s[20:21], v[68:69] op_sel:[0,0,1] op_sel_hi:[1,0,0] neg_lo:[0,0,1] neg_hi:[0,0,1]
	v_mov_b32_e32 v76, v66
	v_mov_b32_e32 v77, v69
	v_pk_add_f32 v[2:3], v[76:77], v[2:3]
	s_barrier
	s_and_saveexec_b64 s[4:5], s[0:1]
	s_cbranch_execz .LBB0_14
; %bb.13:
	v_pk_add_f32 v[8:9], v[0:1], v[8:9]
	s_mov_b32 s34, 0xbf68dda4
	v_pk_add_f32 v[8:9], v[8:9], v[10:11]
	s_mov_b32 s0, 0xbf7d64f0
	v_pk_add_f32 v[8:9], v[8:9], v[16:17]
	v_pk_mul_f32 v[82:83], v[38:39], s[14:15] op_sel_hi:[1,0]
	v_pk_add_f32 v[8:9], v[8:9], v[18:19]
	v_pk_fma_f32 v[84:85], v[32:33], s[12:13], v[82:83] op_sel:[0,0,1] op_sel_hi:[1,0,0] neg_lo:[0,0,1] neg_hi:[0,0,1]
	v_pk_add_f32 v[8:9], v[8:9], v[20:21]
	v_pk_fma_f32 v[82:83], v[32:33], s[12:13], v[82:83] op_sel:[0,0,1] op_sel_hi:[1,0,0]
	v_pk_add_f32 v[8:9], v[8:9], v[22:23]
	v_mov_b32_e32 v86, v84
	v_pk_add_f32 v[8:9], v[8:9], v[12:13]
	v_pk_mul_f32 v[12:13], v[38:39], s[34:35] op_sel_hi:[1,0]
	v_pk_add_f32 v[8:9], v[8:9], v[14:15]
	v_pk_fma_f32 v[14:15], v[32:33], s[20:21], v[12:13] op_sel:[0,0,1] op_sel_hi:[1,0,0] neg_lo:[0,0,1] neg_hi:[0,0,1]
	v_pk_add_f32 v[4:5], v[8:9], v[4:5]
	v_pk_fma_f32 v[12:13], v[32:33], s[20:21], v[12:13] op_sel:[0,0,1] op_sel_hi:[1,0,0]
	v_pk_add_f32 v[4:5], v[4:5], v[6:7]
	v_pk_mul_f32 v[6:7], v[34:35], s[28:29] op_sel_hi:[1,0]
	v_mov_b32_e32 v16, v14
	v_pk_fma_f32 v[8:9], v[30:31], s[18:19], v[6:7] op_sel:[0,0,1] op_sel_hi:[1,0,0] neg_lo:[0,0,1] neg_hi:[0,0,1]
	v_pk_fma_f32 v[6:7], v[30:31], s[18:19], v[6:7] op_sel:[0,0,1] op_sel_hi:[1,0,0]
	v_mov_b32_e32 v10, v8
	v_mov_b32_e32 v11, v7
	v_pk_add_f32 v[10:11], v[0:1], v[10:11]
	v_mov_b32_e32 v17, v13
	v_pk_add_f32 v[10:11], v[16:17], v[10:11]
	v_pk_mul_f32 v[16:17], v[40:41], s[0:1] op_sel_hi:[1,0]
	v_mul_u32_u24_e32 v7, 0x50, v28
	v_pk_fma_f32 v[18:19], v[36:37], s[10:11], v[16:17] op_sel:[0,0,1] op_sel_hi:[1,0,0] neg_lo:[0,0,1] neg_hi:[0,0,1]
	v_pk_fma_f32 v[16:17], v[36:37], s[10:11], v[16:17] op_sel:[0,0,1] op_sel_hi:[1,0,0]
	v_mov_b32_e32 v20, v18
	v_mov_b32_e32 v21, v17
	v_pk_add_f32 v[10:11], v[20:21], v[10:11]
	v_pk_mul_f32 v[20:21], v[44:45], s[14:15] op_sel_hi:[1,0]
	v_add3_u32 v8, v73, v7, v29
	v_pk_fma_f32 v[22:23], v[42:43], s[12:13], v[20:21] op_sel:[0,0,1] op_sel_hi:[1,0,0] neg_lo:[0,0,1] neg_hi:[0,0,1]
	v_pk_fma_f32 v[20:21], v[42:43], s[12:13], v[20:21] op_sel:[0,0,1] op_sel_hi:[1,0,0]
	v_mov_b32_e32 v76, v22
	v_mov_b32_e32 v77, v21
	v_pk_add_f32 v[10:11], v[76:77], v[10:11]
	v_pk_mul_f32 v[76:77], v[52:53], s[26:27] op_sel_hi:[1,0]
	v_mov_b32_e32 v87, v83
	v_pk_fma_f32 v[78:79], v[50:51], s[22:23], v[76:77] op_sel:[0,0,1] op_sel_hi:[1,0,0] neg_lo:[0,0,1] neg_hi:[0,0,1]
	v_pk_fma_f32 v[76:77], v[50:51], s[22:23], v[76:77] op_sel:[0,0,1] op_sel_hi:[1,0,0]
	v_mov_b32_e32 v80, v78
	v_mov_b32_e32 v81, v77
	v_pk_add_f32 v[10:11], v[80:81], v[10:11]
	ds_write2_b64 v8, v[4:5], v[10:11] offset1:1
	v_pk_mul_f32 v[4:5], v[34:35], s[34:35] op_sel_hi:[1,0]
	s_mov_b32 s34, 0x3e903f40
	v_pk_fma_f32 v[10:11], v[30:31], s[20:21], v[4:5] op_sel:[0,0,1] op_sel_hi:[1,0,0] neg_lo:[0,0,1] neg_hi:[0,0,1]
	v_pk_fma_f32 v[4:5], v[30:31], s[20:21], v[4:5] op_sel:[0,0,1] op_sel_hi:[1,0,0]
	v_mov_b32_e32 v80, v10
	v_mov_b32_e32 v81, v5
	v_pk_add_f32 v[80:81], v[0:1], v[80:81]
	v_pk_mul_f32 v[104:105], v[38:39], s[34:35] op_sel_hi:[1,0]
	v_pk_add_f32 v[80:81], v[86:87], v[80:81]
	v_pk_mul_f32 v[86:87], v[40:41], s[34:35] op_sel_hi:[1,0]
	v_pk_fma_f32 v[106:107], v[32:33], s[22:23], v[104:105] op_sel:[0,0,1] op_sel_hi:[1,0,0] neg_lo:[0,0,1] neg_hi:[0,0,1]
	v_pk_fma_f32 v[88:89], v[36:37], s[22:23], v[86:87] op_sel:[0,0,1] op_sel_hi:[1,0,0] neg_lo:[0,0,1] neg_hi:[0,0,1]
	v_pk_fma_f32 v[86:87], v[36:37], s[22:23], v[86:87] op_sel:[0,0,1] op_sel_hi:[1,0,0]
	v_mov_b32_e32 v90, v88
	v_mov_b32_e32 v91, v87
	v_pk_add_f32 v[80:81], v[90:91], v[80:81]
	v_pk_mul_f32 v[90:91], v[44:45], s[30:31] op_sel_hi:[1,0]
	s_mov_b32 s30, 0x3f0a6770
	v_pk_fma_f32 v[92:93], v[42:43], s[10:11], v[90:91] op_sel:[0,0,1] op_sel_hi:[1,0,0] neg_lo:[0,0,1] neg_hi:[0,0,1]
	v_pk_fma_f32 v[90:91], v[42:43], s[10:11], v[90:91] op_sel:[0,0,1] op_sel_hi:[1,0,0]
	v_mov_b32_e32 v94, v92
	v_mov_b32_e32 v95, v91
	v_pk_add_f32 v[80:81], v[94:95], v[80:81]
	v_pk_mul_f32 v[94:95], v[52:53], s[30:31] op_sel_hi:[1,0]
	v_pk_fma_f32 v[104:105], v[32:33], s[22:23], v[104:105] op_sel:[0,0,1] op_sel_hi:[1,0,0]
	v_pk_fma_f32 v[96:97], v[50:51], s[18:19], v[94:95] op_sel:[0,0,1] op_sel_hi:[1,0,0] neg_lo:[0,0,1] neg_hi:[0,0,1]
	v_pk_fma_f32 v[94:95], v[50:51], s[18:19], v[94:95] op_sel:[0,0,1] op_sel_hi:[1,0,0]
	v_mov_b32_e32 v98, v96
	v_mov_b32_e32 v99, v95
	v_pk_add_f32 v[80:81], v[98:99], v[80:81]
	v_pk_mul_f32 v[98:99], v[34:35], s[0:1] op_sel_hi:[1,0]
	v_pk_mul_f32 v[34:35], v[34:35], s[26:27] op_sel_hi:[1,0]
	v_pk_fma_f32 v[100:101], v[30:31], s[10:11], v[98:99] op_sel:[0,0,1] op_sel_hi:[1,0,0] neg_lo:[0,0,1] neg_hi:[0,0,1]
	v_pk_fma_f32 v[98:99], v[30:31], s[10:11], v[98:99] op_sel:[0,0,1] op_sel_hi:[1,0,0]
	v_mov_b32_e32 v102, v100
	v_mov_b32_e32 v103, v99
	;; [unrolled: 1-line block ×3, first 2 shown]
	v_pk_fma_f32 v[48:49], v[30:31], s[22:23], v[34:35] op_sel:[0,0,1] op_sel_hi:[1,0,0] neg_lo:[0,0,1] neg_hi:[0,0,1]
	v_pk_fma_f32 v[30:31], v[30:31], s[22:23], v[34:35] op_sel:[0,0,1] op_sel_hi:[1,0,0]
	v_pk_mul_f32 v[34:35], v[38:39], s[30:31] op_sel_hi:[1,0]
	v_pk_add_f32 v[102:103], v[0:1], v[102:103]
	v_mov_b32_e32 v108, v106
	v_mov_b32_e32 v109, v105
	;; [unrolled: 1-line block ×3, first 2 shown]
	v_pk_add_f32 v[46:47], v[0:1], v[46:47]
	v_pk_fma_f32 v[38:39], v[32:33], s[18:19], v[34:35] op_sel:[0,0,1] op_sel_hi:[1,0,0] neg_lo:[0,0,1] neg_hi:[0,0,1]
	v_pk_fma_f32 v[32:33], v[32:33], s[18:19], v[34:35] op_sel:[0,0,1] op_sel_hi:[1,0,0]
	v_mov_b32_e32 v34, v48
	v_mov_b32_e32 v35, v31
	v_pk_add_f32 v[102:103], v[108:109], v[102:103]
	v_pk_mul_f32 v[108:109], v[40:41], s[24:25] op_sel_hi:[1,0]
	v_pk_add_f32 v[46:47], v[54:55], v[46:47]
	v_pk_add_f32 v[34:35], v[0:1], v[34:35]
	v_mov_b32_e32 v54, v38
	v_mov_b32_e32 v55, v33
	v_pk_mul_f32 v[40:41], v[40:41], s[14:15] op_sel_hi:[1,0]
	v_pk_fma_f32 v[110:111], v[36:37], s[20:21], v[108:109] op_sel:[0,0,1] op_sel_hi:[1,0,0] neg_lo:[0,0,1] neg_hi:[0,0,1]
	v_pk_fma_f32 v[108:109], v[36:37], s[20:21], v[108:109] op_sel:[0,0,1] op_sel_hi:[1,0,0]
	v_pk_add_f32 v[34:35], v[54:55], v[34:35]
	v_pk_fma_f32 v[54:55], v[36:37], s[12:13], v[40:41] op_sel:[0,0,1] op_sel_hi:[1,0,0] neg_lo:[0,0,1] neg_hi:[0,0,1]
	v_pk_fma_f32 v[36:37], v[36:37], s[12:13], v[40:41] op_sel:[0,0,1] op_sel_hi:[1,0,0]
	v_mov_b32_e32 v40, v54
	v_mov_b32_e32 v41, v37
	;; [unrolled: 1-line block ×4, first 2 shown]
	v_pk_add_f32 v[34:35], v[40:41], v[34:35]
	v_pk_mul_f32 v[40:41], v[44:45], s[24:25] op_sel_hi:[1,0]
	v_pk_add_f32 v[102:103], v[112:113], v[102:103]
	v_pk_mul_f32 v[112:113], v[44:45], s[28:29] op_sel_hi:[1,0]
	v_pk_fma_f32 v[44:45], v[42:43], s[20:21], v[40:41] op_sel:[0,0,1] op_sel_hi:[1,0,0] neg_lo:[0,0,1] neg_hi:[0,0,1]
	v_pk_fma_f32 v[40:41], v[42:43], s[20:21], v[40:41] op_sel:[0,0,1] op_sel_hi:[1,0,0]
	v_mov_b32_e32 v31, v49
	v_pk_fma_f32 v[114:115], v[42:43], s[18:19], v[112:113] op_sel:[0,0,1] op_sel_hi:[1,0,0] neg_lo:[0,0,1] neg_hi:[0,0,1]
	v_pk_fma_f32 v[112:113], v[42:43], s[18:19], v[112:113] op_sel:[0,0,1] op_sel_hi:[1,0,0]
	v_mov_b32_e32 v42, v44
	v_mov_b32_e32 v43, v41
	;; [unrolled: 1-line block ×3, first 2 shown]
	v_pk_add_f32 v[30:31], v[0:1], v[30:31]
	v_mov_b32_e32 v116, v114
	v_mov_b32_e32 v117, v113
	v_pk_add_f32 v[34:35], v[42:43], v[34:35]
	v_pk_mul_f32 v[42:43], v[52:53], s[0:1] op_sel_hi:[1,0]
	v_pk_add_f32 v[30:31], v[32:33], v[30:31]
	v_mov_b32_e32 v37, v55
	v_pk_add_f32 v[102:103], v[116:117], v[102:103]
	v_pk_mul_f32 v[116:117], v[52:53], s[14:15] op_sel_hi:[1,0]
	v_pk_fma_f32 v[52:53], v[50:51], s[10:11], v[42:43] op_sel:[0,0,1] op_sel_hi:[1,0,0] neg_lo:[0,0,1] neg_hi:[0,0,1]
	v_pk_fma_f32 v[42:43], v[50:51], s[10:11], v[42:43] op_sel:[0,0,1] op_sel_hi:[1,0,0]
	v_pk_add_f32 v[30:31], v[36:37], v[30:31]
	v_mov_b32_e32 v41, v45
	v_pk_fma_f32 v[118:119], v[50:51], s[12:13], v[116:117] op_sel:[0,0,1] op_sel_hi:[1,0,0] neg_lo:[0,0,1] neg_hi:[0,0,1]
	v_pk_fma_f32 v[116:117], v[50:51], s[12:13], v[116:117] op_sel:[0,0,1] op_sel_hi:[1,0,0]
	v_mov_b32_e32 v51, v43
	v_pk_add_f32 v[30:31], v[40:41], v[30:31]
	v_mov_b32_e32 v43, v53
	v_pk_add_f32 v[30:31], v[42:43], v[30:31]
	v_mov_b32_e32 v99, v101
	v_mov_b32_e32 v5, v11
	;; [unrolled: 1-line block ×3, first 2 shown]
	ds_write2_b64 v8, v[30:31], v[2:3] offset0:6 offset1:7
	v_mov_b32_e32 v105, v107
	v_pk_add_f32 v[30:31], v[0:1], v[98:99]
	v_pk_add_f32 v[4:5], v[0:1], v[4:5]
	v_mov_b32_e32 v83, v85
	v_pk_add_f32 v[0:1], v[0:1], v[6:7]
	v_mov_b32_e32 v13, v15
	v_mov_b32_e32 v61, v59
	v_pk_add_f32 v[30:31], v[104:105], v[30:31]
	v_mov_b32_e32 v109, v111
	v_pk_add_f32 v[4:5], v[82:83], v[4:5]
	;; [unrolled: 2-line block ×7, first 2 shown]
	v_mov_b32_e32 v21, v23
	v_mov_b32_e32 v120, v118
	;; [unrolled: 1-line block ×3, first 2 shown]
	v_pk_add_f32 v[46:47], v[64:65], v[46:47]
	v_mov_b32_e32 v69, v67
	v_mov_b32_e32 v50, v52
	v_pk_add_f32 v[30:31], v[112:113], v[30:31]
	v_mov_b32_e32 v117, v119
	v_pk_add_f32 v[4:5], v[90:91], v[4:5]
	v_mov_b32_e32 v95, v97
	v_pk_add_f32 v[0:1], v[20:21], v[0:1]
	v_mov_b32_e32 v77, v79
	v_pk_add_f32 v[102:103], v[120:121], v[102:103]
	v_pk_add_f32 v[46:47], v[68:69], v[46:47]
	v_pk_add_f32 v[34:35], v[50:51], v[34:35]
	;; [unrolled: 1-line block ×5, first 2 shown]
	ds_write2_b64 v8, v[80:81], v[102:103] offset0:2 offset1:3
	ds_write2_b64 v8, v[46:47], v[34:35] offset0:4 offset1:5
	ds_write2_b64 v8, v[30:31], v[4:5] offset0:8 offset1:9
	ds_write_b64 v8, v[0:1] offset:80
.LBB0_14:
	s_or_b64 exec, exec, s[4:5]
	v_add_u32_e32 v12, -11, v28
	v_cmp_gt_u32_e64 s[0:1], 11, v28
	v_mov_b32_e32 v15, 0
	s_load_dwordx2 s[4:5], s[2:3], 0x0
	v_cndmask_b32_e64 v13, v12, v28, s[0:1]
	v_mul_i32_i24_e32 v14, 6, v13
	v_lshl_add_u64 v[0:1], v[14:15], 3, s[8:9]
	s_waitcnt lgkmcnt(0)
	s_barrier
	global_load_dwordx4 v[4:7], v[0:1], off
	global_load_dwordx4 v[8:11], v[0:1], off offset:32
	global_load_dwordx4 v[16:19], v[0:1], off offset:16
	ds_read2_b64 v[20:23], v72 offset0:66 offset1:88
	ds_read2_b64 v[30:33], v72 offset0:22 offset1:44
	ds_read_b64 v[0:1], v74
	ds_read2_b64 v[34:37], v72 offset0:110 offset1:132
	s_mov_b32 s14, 0x3eae86e6
	s_waitcnt lgkmcnt(3)
	v_mov_b32_e32 v43, v20
	s_waitcnt lgkmcnt(2)
	v_mov_b32_e32 v42, v31
	v_mov_b32_e32 v46, v23
	s_waitcnt lgkmcnt(0)
	v_mov_b32_e32 v45, v35
	v_mov_b32_e32 v47, v34
	;; [unrolled: 1-line block ×11, first 2 shown]
	s_mov_b32 s10, 0x3d64c772
	s_mov_b32 s15, 0xbf08b237
	;; [unrolled: 1-line block ×8, first 2 shown]
	s_barrier
	s_waitcnt vmcnt(2)
	v_mul_f32_e32 v14, v7, v33
	s_waitcnt vmcnt(1)
	v_mul_f32_e32 v35, v9, v35
	s_waitcnt vmcnt(0)
	v_mov_b32_e32 v52, v16
	v_mov_b32_e32 v53, v7
	;; [unrolled: 1-line block ×5, first 2 shown]
	v_fma_f32 v7, v8, v34, -v35
	v_mov_b32_e32 v8, v19
	v_mul_f32_e32 v30, v5, v30
	v_mov_b32_e32 v54, v17
	v_mov_b32_e32 v55, v6
	;; [unrolled: 1-line block ×4, first 2 shown]
	v_fma_f32 v5, v6, v32, -v14
	v_mov_b32_e32 v32, v21
	v_pk_mul_f32 v[16:17], v[16:17], v[42:43]
	v_pk_mul_f32 v[8:9], v[8:9], v[46:47]
	v_mov_b32_e32 v61, v18
	v_pk_mul_f32 v[32:33], v[54:55], v[32:33]
	v_pk_fma_f32 v[42:43], v[56:57], v[40:41], v[16:17] neg_lo:[0,0,1] neg_hi:[0,0,1]
	v_pk_fma_f32 v[16:17], v[56:57], v[40:41], v[16:17]
	v_pk_fma_f32 v[22:23], v[18:19], v[22:23], v[8:9] neg_lo:[0,0,1] neg_hi:[0,0,1]
	v_pk_fma_f32 v[8:9], v[58:59], v[44:45], v[8:9]
	v_mov_b32_e32 v18, v11
	v_mov_b32_e32 v60, v10
	v_pk_fma_f32 v[20:21], v[52:53], v[20:21], v[32:33] neg_lo:[0,0,1] neg_hi:[0,0,1]
	v_pk_fma_f32 v[32:33], v[52:53], v[38:39], v[32:33]
	v_mov_b32_e32 v43, v17
	v_mov_b32_e32 v8, v17
	v_pk_mul_f32 v[16:17], v[18:19], v[50:51]
	v_mul_f32_e32 v36, v11, v36
	v_fmac_f32_e32 v30, v4, v31
	v_mov_b32_e32 v21, v33
	v_mov_b32_e32 v4, v33
	v_pk_fma_f32 v[32:33], v[60:61], v[48:49], v[16:17] neg_lo:[0,0,1] neg_hi:[0,0,1]
	v_pk_fma_f32 v[16:17], v[60:61], v[48:49], v[16:17]
	v_fmac_f32_e32 v36, v10, v37
	v_mov_b32_e32 v31, v42
	v_mov_b32_e32 v23, v9
	;; [unrolled: 1-line block ×8, first 2 shown]
	v_add_f32_e32 v35, v30, v36
	v_add_f32_e32 v10, v5, v7
	v_pk_add_f32 v[4:5], v[4:5], v[6:7] neg_lo:[0,1] neg_hi:[0,1]
	v_pk_add_f32 v[6:7], v[20:21], v[22:23]
	v_pk_add_f32 v[22:23], v[30:31], v[36:37] neg_lo:[0,1] neg_hi:[0,1]
	v_pk_add_f32 v[30:31], v[42:43], v[32:33]
	v_pk_add_f32 v[8:9], v[18:19], v[8:9] neg_lo:[0,1] neg_hi:[0,1]
	v_add_f32_e32 v17, v7, v35
	v_mov_b32_e32 v34, v6
	v_mov_b32_e32 v20, v4
	v_add_f32_e32 v18, v10, v30
	v_mov_b32_e32 v11, v31
	v_mov_b32_e32 v38, v8
	;; [unrolled: 1-line block ×6, first 2 shown]
	v_pk_add_f32 v[36:37], v[8:9], v[4:5]
	v_pk_add_f32 v[40:41], v[34:35], v[10:11] neg_lo:[0,1] neg_hi:[0,1]
	v_pk_add_f32 v[20:21], v[38:39], v[20:21] neg_lo:[0,1] neg_hi:[0,1]
	v_mov_b32_e32 v38, v22
	v_mov_b32_e32 v39, v9
	;; [unrolled: 1-line block ×3, first 2 shown]
	v_pk_add_f32 v[16:17], v[18:19], v[16:17]
	v_pk_add_f32 v[32:33], v[30:31], v[6:7] neg_lo:[0,1] neg_hi:[0,1]
	v_pk_add_f32 v[8:9], v[38:39], v[8:9] neg_lo:[0,1] neg_hi:[0,1]
	v_pk_add_f32 v[18:19], v[36:37], v[22:23]
	v_pk_add_f32 v[36:37], v[16:17], v[0:1]
	v_pk_mul_f32 v[38:39], v[40:41], s[10:11]
	v_pk_mul_f32 v[20:21], v[20:21], s[18:19]
	s_mov_b32 s10, 0x3ee1c552
	v_pk_mul_f32 v[42:43], v[8:9], s[14:15]
	v_pk_fma_f32 v[44:45], v[16:17], s[2:3], v[36:37] op_sel_hi:[1,0,1]
	v_pk_fma_f32 v[0:1], v[32:33], s[12:13], v[38:39]
	v_pk_fma_f32 v[8:9], v[8:9], s[14:15], v[20:21]
	v_mov_b32_e32 v6, 0x268
	v_cmp_lt_u32_e64 s[2:3], 10, v28
	v_pk_add_f32 v[16:17], v[0:1], v[44:45]
	v_pk_fma_f32 v[8:9], v[18:19], s[10:11], v[8:9] op_sel_hi:[1,0,1]
	v_cndmask_b32_e64 v6, 0, v6, s[2:3]
	v_pk_add_f32 v[0:1], v[16:17], v[8:9] neg_lo:[0,1] neg_hi:[0,1]
	v_pk_add_f32 v[16:17], v[16:17], v[8:9]
	v_add_u32_e32 v6, 0, v6
	v_lshlrev_b32_e32 v8, 3, v13
	v_pk_mul_f32 v[40:41], v[32:33], s[12:13]
	v_add3_u32 v13, v6, v8, v29
	v_mov_b32_e32 v8, v16
	v_mov_b32_e32 v9, v1
	v_mov_b32_e32 v11, v7
	v_mov_b32_e32 v31, v35
	ds_write2_b64 v13, v[36:37], v[8:9] offset1:11
	v_pk_add_f32 v[6:7], v[10:11], v[30:31] neg_lo:[0,1] neg_hi:[0,1]
	v_pk_add_f32 v[4:5], v[4:5], v[22:23] neg_lo:[0,1] neg_hi:[0,1]
	s_mov_b32 s2, 0x3f3bfb3b
	s_mov_b32 s12, 0x3f5ff5aa
	v_mov_b32_e32 v8, v40
	v_mov_b32_e32 v9, v39
	;; [unrolled: 1-line block ×6, first 2 shown]
	v_pk_fma_f32 v[8:9], v[6:7], s[2:3], v[8:9] op_sel_hi:[1,0,1] neg_lo:[1,0,1] neg_hi:[1,0,1]
	v_pk_fma_f32 v[10:11], v[4:5], s[12:13], v[10:11] op_sel_hi:[1,0,1] neg_lo:[1,0,1] neg_hi:[1,0,1]
	;; [unrolled: 1-line block ×4, first 2 shown]
	v_pk_add_f32 v[8:9], v[8:9], v[44:45]
	v_pk_fma_f32 v[10:11], v[18:19], s[10:11], v[10:11] op_sel_hi:[1,0,1]
	v_pk_add_f32 v[6:7], v[6:7], v[44:45]
	v_pk_fma_f32 v[4:5], v[18:19], s[10:11], v[4:5] op_sel_hi:[1,0,1]
	v_pk_add_f32 v[22:23], v[8:9], v[10:11]
	v_pk_add_f32 v[8:9], v[8:9], v[10:11] neg_lo:[0,1] neg_hi:[0,1]
	v_pk_add_f32 v[18:19], v[6:7], v[4:5] neg_lo:[0,1] neg_hi:[0,1]
	v_pk_add_f32 v[4:5], v[6:7], v[4:5]
	v_mov_b32_e32 v10, v22
	v_mov_b32_e32 v11, v9
	;; [unrolled: 1-line block ×7, first 2 shown]
	ds_write2_b64 v13, v[10:11], v[6:7] offset0:22 offset1:33
	ds_write2_b64 v13, v[4:5], v[8:9] offset0:44 offset1:55
	ds_write_b64 v13, v[0:1] offset:528
	s_waitcnt lgkmcnt(0)
	s_barrier
	ds_read2_b64 v[8:11], v72 offset0:77 offset1:99
	ds_read2_b64 v[4:7], v72 offset0:22 offset1:44
	ds_read_b64 v[18:19], v74
	ds_read_b64 v[20:21], v72 offset:968
	s_and_saveexec_b64 s[2:3], s[0:1]
	s_cbranch_execz .LBB0_16
; %bb.15:
	ds_read2_b64 v[0:3], v72 offset0:66 offset1:143
	v_add_u32_e32 v12, 0x42, v28
	s_waitcnt lgkmcnt(0)
	v_mov_b32_e32 v17, v1
.LBB0_16:
	s_or_b64 exec, exec, s[2:3]
	v_mov_b32_e32 v29, v15
	v_lshl_add_u64 v[14:15], v[28:29], 3, s[8:9]
	global_load_dwordx2 v[22:23], v[14:15], off offset:528
	global_load_dwordx2 v[30:31], v[14:15], off offset:704
	;; [unrolled: 1-line block ×3, first 2 shown]
	v_lshl_add_u32 v1, v70, 3, v73
	s_waitcnt lgkmcnt(0)
	s_barrier
	s_waitcnt vmcnt(2)
	v_pk_mul_f32 v[14:15], v[22:23], v[8:9] op_sel:[0,1]
	s_waitcnt vmcnt(1)
	v_pk_mul_f32 v[34:35], v[30:31], v[10:11] op_sel:[0,1]
	;; [unrolled: 2-line block ×3, first 2 shown]
	v_pk_fma_f32 v[38:39], v[22:23], v[8:9], v[14:15] op_sel:[0,0,1] op_sel_hi:[1,1,0] neg_lo:[0,0,1] neg_hi:[0,0,1]
	v_pk_fma_f32 v[8:9], v[22:23], v[8:9], v[14:15] op_sel:[0,0,1] op_sel_hi:[1,0,0]
	v_pk_fma_f32 v[14:15], v[30:31], v[10:11], v[34:35] op_sel:[0,0,1] op_sel_hi:[1,1,0] neg_lo:[0,0,1] neg_hi:[0,0,1]
	v_pk_fma_f32 v[10:11], v[30:31], v[10:11], v[34:35] op_sel:[0,0,1] op_sel_hi:[1,0,0]
	;; [unrolled: 2-line block ×3, first 2 shown]
	v_mov_b32_e32 v39, v9
	v_mov_b32_e32 v15, v11
	;; [unrolled: 1-line block ×3, first 2 shown]
	v_pk_add_f32 v[8:9], v[18:19], v[38:39] neg_lo:[0,1] neg_hi:[0,1]
	v_pk_add_f32 v[10:11], v[4:5], v[14:15] neg_lo:[0,1] neg_hi:[0,1]
	;; [unrolled: 1-line block ×3, first 2 shown]
	v_pk_fma_f32 v[18:19], v[18:19], 2.0, v[8:9] op_sel_hi:[1,0,1] neg_lo:[0,0,1] neg_hi:[0,0,1]
	v_pk_fma_f32 v[4:5], v[4:5], 2.0, v[10:11] op_sel_hi:[1,0,1] neg_lo:[0,0,1] neg_hi:[0,0,1]
	v_pk_fma_f32 v[6:7], v[6:7], 2.0, v[14:15] op_sel_hi:[1,0,1] neg_lo:[0,0,1] neg_hi:[0,0,1]
	ds_write2_b64 v72, v[18:19], v[4:5] offset1:22
	ds_write2_b64 v72, v[6:7], v[8:9] offset0:44 offset1:77
	ds_write2_b64 v1, v[10:11], v[14:15] offset0:99 offset1:121
	s_and_saveexec_b64 s[2:3], s[0:1]
	s_cbranch_execz .LBB0_18
; %bb.17:
	v_mov_b32_e32 v13, 0
	v_lshl_add_u64 v[4:5], v[12:13], 3, s[8:9]
	global_load_dwordx2 v[4:5], v[4:5], off offset:528
	v_mov_b32_e32 v6, v3
	v_mov_b32_e32 v1, v17
	s_waitcnt vmcnt(0)
	v_pk_mul_f32 v[6:7], v[6:7], v[4:5] op_sel_hi:[0,1]
	v_pk_fma_f32 v[8:9], v[2:3], v[4:5], v[6:7] op_sel:[0,0,1] op_sel_hi:[1,1,0] neg_lo:[0,0,1] neg_hi:[0,0,1]
	v_pk_fma_f32 v[2:3], v[2:3], v[4:5], v[6:7] op_sel:[0,0,1] op_sel_hi:[0,1,0]
	v_mov_b32_e32 v9, v3
	v_pk_add_f32 v[2:3], v[0:1], v[8:9] neg_lo:[0,1] neg_hi:[0,1]
	s_nop 0
	v_pk_fma_f32 v[0:1], v[0:1], 2.0, v[2:3] op_sel_hi:[1,0,1] neg_lo:[0,0,1] neg_hi:[0,0,1]
	ds_write2_b64 v72, v[0:1], v[2:3] offset0:66 offset1:143
.LBB0_18:
	s_or_b64 exec, exec, s[2:3]
	s_waitcnt lgkmcnt(0)
	s_barrier
	s_and_saveexec_b64 s[0:1], vcc
	s_cbranch_execz .LBB0_20
; %bb.19:
	v_mul_lo_u32 v0, s5, v26
	v_mul_lo_u32 v1, s4, v27
	v_mad_u64_u32 v[4:5], s[0:1], s4, v26, 0
	v_mad_u64_u32 v[6:7], s[0:1], s16, v28, 0
	v_add3_u32 v5, v5, v1, v0
	v_mov_b32_e32 v0, v7
	v_lshl_add_u32 v10, v28, 3, v71
	v_mad_u64_u32 v[8:9], s[0:1], s17, v28, v[0:1]
	ds_read2_b64 v[0:3], v10 offset1:22
	v_lshl_add_u64 v[4:5], v[4:5], 3, s[6:7]
	v_mov_b32_e32 v7, v8
	v_lshl_add_u64 v[4:5], v[24:25], 3, v[4:5]
	v_lshl_add_u64 v[6:7], v[6:7], 3, v[4:5]
	s_waitcnt lgkmcnt(0)
	global_store_dwordx2 v[6:7], v[0:1], off
	v_add_u32_e32 v7, 22, v28
	v_mad_u64_u32 v[0:1], s[0:1], s16, v7, 0
	v_mov_b32_e32 v6, v1
	v_mad_u64_u32 v[6:7], s[0:1], s17, v7, v[6:7]
	v_mov_b32_e32 v1, v6
	v_lshl_add_u64 v[0:1], v[0:1], 3, v[4:5]
	v_add_u32_e32 v9, 44, v28
	global_store_dwordx2 v[0:1], v[2:3], off
	v_mad_u64_u32 v[6:7], s[0:1], s16, v9, 0
	ds_read2_b64 v[0:3], v10 offset0:44 offset1:66
	v_mov_b32_e32 v8, v7
	v_mad_u64_u32 v[8:9], s[0:1], s17, v9, v[8:9]
	v_mov_b32_e32 v7, v8
	v_lshl_add_u64 v[6:7], v[6:7], 3, v[4:5]
	s_waitcnt lgkmcnt(0)
	global_store_dwordx2 v[6:7], v[0:1], off
	v_add_u32_e32 v7, 0x42, v28
	v_mad_u64_u32 v[0:1], s[0:1], s16, v7, 0
	v_mov_b32_e32 v6, v1
	v_mad_u64_u32 v[6:7], s[0:1], s17, v7, v[6:7]
	v_mov_b32_e32 v1, v6
	v_lshl_add_u64 v[0:1], v[0:1], 3, v[4:5]
	v_add_u32_e32 v9, 0x58, v28
	global_store_dwordx2 v[0:1], v[2:3], off
	v_mad_u64_u32 v[6:7], s[0:1], s16, v9, 0
	ds_read2_b64 v[0:3], v10 offset0:88 offset1:110
	v_mov_b32_e32 v8, v7
	v_mad_u64_u32 v[8:9], s[0:1], s17, v9, v[8:9]
	v_mov_b32_e32 v7, v8
	v_lshl_add_u64 v[6:7], v[6:7], 3, v[4:5]
	s_waitcnt lgkmcnt(0)
	global_store_dwordx2 v[6:7], v[0:1], off
	v_add_u32_e32 v7, 0x6e, v28
	v_mad_u64_u32 v[0:1], s[0:1], s16, v7, 0
	v_mov_b32_e32 v6, v1
	v_mad_u64_u32 v[6:7], s[0:1], s17, v7, v[6:7]
	v_mov_b32_e32 v1, v6
	v_lshl_add_u64 v[0:1], v[0:1], 3, v[4:5]
	global_store_dwordx2 v[0:1], v[2:3], off
	v_add_u32_e32 v3, 0x84, v28
	v_mad_u64_u32 v[0:1], s[0:1], s16, v3, 0
	ds_read_b64 v[6:7], v10 offset:1056
	v_mov_b32_e32 v2, v1
	v_mad_u64_u32 v[2:3], s[0:1], s17, v3, v[2:3]
	v_mov_b32_e32 v1, v2
	v_lshl_add_u64 v[0:1], v[0:1], 3, v[4:5]
	s_waitcnt lgkmcnt(0)
	global_store_dwordx2 v[0:1], v[6:7], off
.LBB0_20:
	s_endpgm
	.section	.rodata,"a",@progbits
	.p2align	6, 0x0
	.amdhsa_kernel fft_rtc_fwd_len154_factors_11_7_2_wgs_110_tpt_22_sp_op_CI_CI_sbrr_dirReg
		.amdhsa_group_segment_fixed_size 0
		.amdhsa_private_segment_fixed_size 0
		.amdhsa_kernarg_size 104
		.amdhsa_user_sgpr_count 2
		.amdhsa_user_sgpr_dispatch_ptr 0
		.amdhsa_user_sgpr_queue_ptr 0
		.amdhsa_user_sgpr_kernarg_segment_ptr 1
		.amdhsa_user_sgpr_dispatch_id 0
		.amdhsa_user_sgpr_kernarg_preload_length 0
		.amdhsa_user_sgpr_kernarg_preload_offset 0
		.amdhsa_user_sgpr_private_segment_size 0
		.amdhsa_uses_dynamic_stack 0
		.amdhsa_enable_private_segment 0
		.amdhsa_system_sgpr_workgroup_id_x 1
		.amdhsa_system_sgpr_workgroup_id_y 0
		.amdhsa_system_sgpr_workgroup_id_z 0
		.amdhsa_system_sgpr_workgroup_info 0
		.amdhsa_system_vgpr_workitem_id 0
		.amdhsa_next_free_vgpr 122
		.amdhsa_next_free_sgpr 36
		.amdhsa_accum_offset 124
		.amdhsa_reserve_vcc 1
		.amdhsa_float_round_mode_32 0
		.amdhsa_float_round_mode_16_64 0
		.amdhsa_float_denorm_mode_32 3
		.amdhsa_float_denorm_mode_16_64 3
		.amdhsa_dx10_clamp 1
		.amdhsa_ieee_mode 1
		.amdhsa_fp16_overflow 0
		.amdhsa_tg_split 0
		.amdhsa_exception_fp_ieee_invalid_op 0
		.amdhsa_exception_fp_denorm_src 0
		.amdhsa_exception_fp_ieee_div_zero 0
		.amdhsa_exception_fp_ieee_overflow 0
		.amdhsa_exception_fp_ieee_underflow 0
		.amdhsa_exception_fp_ieee_inexact 0
		.amdhsa_exception_int_div_zero 0
	.end_amdhsa_kernel
	.text
.Lfunc_end0:
	.size	fft_rtc_fwd_len154_factors_11_7_2_wgs_110_tpt_22_sp_op_CI_CI_sbrr_dirReg, .Lfunc_end0-fft_rtc_fwd_len154_factors_11_7_2_wgs_110_tpt_22_sp_op_CI_CI_sbrr_dirReg
                                        ; -- End function
	.section	.AMDGPU.csdata,"",@progbits
; Kernel info:
; codeLenInByte = 5380
; NumSgprs: 42
; NumVgprs: 122
; NumAgprs: 0
; TotalNumVgprs: 122
; ScratchSize: 0
; MemoryBound: 0
; FloatMode: 240
; IeeeMode: 1
; LDSByteSize: 0 bytes/workgroup (compile time only)
; SGPRBlocks: 5
; VGPRBlocks: 15
; NumSGPRsForWavesPerEU: 42
; NumVGPRsForWavesPerEU: 122
; AccumOffset: 124
; Occupancy: 4
; WaveLimiterHint : 1
; COMPUTE_PGM_RSRC2:SCRATCH_EN: 0
; COMPUTE_PGM_RSRC2:USER_SGPR: 2
; COMPUTE_PGM_RSRC2:TRAP_HANDLER: 0
; COMPUTE_PGM_RSRC2:TGID_X_EN: 1
; COMPUTE_PGM_RSRC2:TGID_Y_EN: 0
; COMPUTE_PGM_RSRC2:TGID_Z_EN: 0
; COMPUTE_PGM_RSRC2:TIDIG_COMP_CNT: 0
; COMPUTE_PGM_RSRC3_GFX90A:ACCUM_OFFSET: 30
; COMPUTE_PGM_RSRC3_GFX90A:TG_SPLIT: 0
	.text
	.p2alignl 6, 3212836864
	.fill 256, 4, 3212836864
	.type	__hip_cuid_c59b2a0f3ee48eb7,@object ; @__hip_cuid_c59b2a0f3ee48eb7
	.section	.bss,"aw",@nobits
	.globl	__hip_cuid_c59b2a0f3ee48eb7
__hip_cuid_c59b2a0f3ee48eb7:
	.byte	0                               ; 0x0
	.size	__hip_cuid_c59b2a0f3ee48eb7, 1

	.ident	"AMD clang version 19.0.0git (https://github.com/RadeonOpenCompute/llvm-project roc-6.4.0 25133 c7fe45cf4b819c5991fe208aaa96edf142730f1d)"
	.section	".note.GNU-stack","",@progbits
	.addrsig
	.addrsig_sym __hip_cuid_c59b2a0f3ee48eb7
	.amdgpu_metadata
---
amdhsa.kernels:
  - .agpr_count:     0
    .args:
      - .actual_access:  read_only
        .address_space:  global
        .offset:         0
        .size:           8
        .value_kind:     global_buffer
      - .offset:         8
        .size:           8
        .value_kind:     by_value
      - .actual_access:  read_only
        .address_space:  global
        .offset:         16
        .size:           8
        .value_kind:     global_buffer
      - .actual_access:  read_only
        .address_space:  global
        .offset:         24
        .size:           8
        .value_kind:     global_buffer
      - .actual_access:  read_only
        .address_space:  global
        .offset:         32
        .size:           8
        .value_kind:     global_buffer
      - .offset:         40
        .size:           8
        .value_kind:     by_value
      - .actual_access:  read_only
        .address_space:  global
        .offset:         48
        .size:           8
        .value_kind:     global_buffer
      - .actual_access:  read_only
        .address_space:  global
        .offset:         56
        .size:           8
        .value_kind:     global_buffer
      - .offset:         64
        .size:           4
        .value_kind:     by_value
      - .actual_access:  read_only
        .address_space:  global
        .offset:         72
        .size:           8
        .value_kind:     global_buffer
      - .actual_access:  read_only
        .address_space:  global
        .offset:         80
        .size:           8
        .value_kind:     global_buffer
      - .actual_access:  read_only
        .address_space:  global
        .offset:         88
        .size:           8
        .value_kind:     global_buffer
      - .actual_access:  write_only
        .address_space:  global
        .offset:         96
        .size:           8
        .value_kind:     global_buffer
    .group_segment_fixed_size: 0
    .kernarg_segment_align: 8
    .kernarg_segment_size: 104
    .language:       OpenCL C
    .language_version:
      - 2
      - 0
    .max_flat_workgroup_size: 110
    .name:           fft_rtc_fwd_len154_factors_11_7_2_wgs_110_tpt_22_sp_op_CI_CI_sbrr_dirReg
    .private_segment_fixed_size: 0
    .sgpr_count:     42
    .sgpr_spill_count: 0
    .symbol:         fft_rtc_fwd_len154_factors_11_7_2_wgs_110_tpt_22_sp_op_CI_CI_sbrr_dirReg.kd
    .uniform_work_group_size: 1
    .uses_dynamic_stack: false
    .vgpr_count:     122
    .vgpr_spill_count: 0
    .wavefront_size: 64
amdhsa.target:   amdgcn-amd-amdhsa--gfx950
amdhsa.version:
  - 1
  - 2
...

	.end_amdgpu_metadata
